;; amdgpu-corpus repo=ROCm/rocFFT kind=compiled arch=gfx1201 opt=O3
	.text
	.amdgcn_target "amdgcn-amd-amdhsa--gfx1201"
	.amdhsa_code_object_version 6
	.protected	fft_rtc_fwd_len208_factors_13_16_wgs_144_tpt_16_dp_ip_CI_sbcc ; -- Begin function fft_rtc_fwd_len208_factors_13_16_wgs_144_tpt_16_dp_ip_CI_sbcc
	.globl	fft_rtc_fwd_len208_factors_13_16_wgs_144_tpt_16_dp_ip_CI_sbcc
	.p2align	8
	.type	fft_rtc_fwd_len208_factors_13_16_wgs_144_tpt_16_dp_ip_CI_sbcc,@function
fft_rtc_fwd_len208_factors_13_16_wgs_144_tpt_16_dp_ip_CI_sbcc: ; @fft_rtc_fwd_len208_factors_13_16_wgs_144_tpt_16_dp_ip_CI_sbcc
; %bb.0:
	s_load_b128 s[8:11], s[0:1], 0x18
	s_mov_b32 s17, 0
	s_mov_b32 s2, 0x71c4fc00
	s_movk_i32 s3, 0x7c
	s_mov_b32 s16, s17
	s_mov_b64 s[22:23], 0
	s_add_nc_u64 s[4:5], s[16:17], s[2:3]
	s_delay_alu instid0(SALU_CYCLE_1) | instskip(NEXT) | instid1(SALU_CYCLE_1)
	s_add_co_i32 s5, s5, 0x1c71c6a0
	s_mul_u64 s[6:7], s[4:5], -9
	s_delay_alu instid0(SALU_CYCLE_1)
	s_mul_hi_u32 s13, s4, s7
	s_mul_i32 s12, s4, s7
	s_mul_hi_u32 s16, s4, s6
	s_mul_i32 s15, s5, s6
	s_add_nc_u64 s[12:13], s[16:17], s[12:13]
	s_mul_hi_u32 s14, s5, s6
	s_mul_hi_u32 s18, s5, s7
	s_mul_i32 s6, s5, s7
	s_wait_kmcnt 0x0
	s_load_b64 s[2:3], s[8:9], 0x8
	s_add_co_u32 s7, s12, s15
	s_add_co_ci_u32 s16, s13, s14
	s_add_co_ci_u32 s7, s18, 0
	s_delay_alu instid0(SALU_CYCLE_1) | instskip(NEXT) | instid1(SALU_CYCLE_1)
	s_add_nc_u64 s[6:7], s[16:17], s[6:7]
	v_add_co_u32 v1, s4, s4, s6
	s_delay_alu instid0(VALU_DEP_1) | instskip(SKIP_1) | instid1(VALU_DEP_1)
	s_cmp_lg_u32 s4, 0
	s_add_co_ci_u32 s12, s5, s7
	v_readfirstlane_b32 s13, v1
	s_wait_kmcnt 0x0
	s_add_nc_u64 s[4:5], s[2:3], -1
	s_wait_alu 0xfffe
	s_mul_hi_u32 s7, s4, s12
	s_mul_i32 s6, s4, s12
	s_mul_hi_u32 s16, s4, s13
	s_mul_hi_u32 s15, s5, s13
	s_mul_i32 s13, s5, s13
	s_wait_alu 0xfffe
	s_add_nc_u64 s[6:7], s[16:17], s[6:7]
	s_mul_hi_u32 s14, s5, s12
	s_wait_alu 0xfffe
	s_add_co_u32 s6, s6, s13
	s_add_co_ci_u32 s16, s7, s15
	s_mul_i32 s12, s5, s12
	s_add_co_ci_u32 s13, s14, 0
	s_delay_alu instid0(SALU_CYCLE_1) | instskip(SKIP_2) | instid1(SALU_CYCLE_1)
	s_add_nc_u64 s[6:7], s[16:17], s[12:13]
	s_wait_alu 0xfffe
	s_mul_u64 s[12:13], s[6:7], 9
	v_sub_co_u32 v1, s4, s4, s12
	s_delay_alu instid0(VALU_DEP_1) | instskip(SKIP_1) | instid1(VALU_DEP_1)
	s_cmp_lg_u32 s4, 0
	s_sub_co_ci_u32 s14, s5, s13
	v_sub_co_u32 v2, s12, v1, 9
	s_delay_alu instid0(VALU_DEP_1) | instskip(SKIP_2) | instid1(VALU_DEP_2)
	s_cmp_lg_u32 s12, 0
	v_readfirstlane_b32 s16, v1
	s_sub_co_ci_u32 s12, s14, 0
	v_readfirstlane_b32 s4, v2
	s_delay_alu instid0(VALU_DEP_1)
	s_cmp_gt_u32 s4, 8
	s_add_nc_u64 s[4:5], s[6:7], 1
	s_cselect_b32 s15, -1, 0
	s_wait_alu 0xfffe
	s_cmp_eq_u32 s12, 0
	s_add_nc_u64 s[12:13], s[6:7], 2
	s_cselect_b32 s15, s15, -1
	s_delay_alu instid0(SALU_CYCLE_1)
	s_cmp_lg_u32 s15, 0
	s_wait_alu 0xfffe
	s_cselect_b32 s4, s12, s4
	s_cselect_b32 s5, s13, s5
	s_cmp_gt_u32 s16, 8
	s_mov_b32 s16, ttmp9
	s_cselect_b32 s12, -1, 0
	s_cmp_eq_u32 s14, 0
	s_wait_alu 0xfffe
	s_cselect_b32 s12, s12, -1
	s_wait_alu 0xfffe
	s_cmp_lg_u32 s12, 0
	s_cselect_b32 s5, s5, s7
	s_cselect_b32 s4, s4, s6
	s_wait_alu 0xfffe
	s_add_nc_u64 s[20:21], s[4:5], 1
	s_delay_alu instid0(SALU_CYCLE_1) | instskip(NEXT) | instid1(VALU_DEP_1)
	v_cmp_lt_u64_e64 s4, s[16:17], s[20:21]
	s_and_b32 vcc_lo, exec_lo, s4
	s_cbranch_vccnz .LBB0_2
; %bb.1:
	v_cvt_f32_u32_e32 v1, s20
	s_sub_co_i32 s5, 0, s20
	s_mov_b32 s23, s17
	s_delay_alu instid0(VALU_DEP_1) | instskip(NEXT) | instid1(TRANS32_DEP_1)
	v_rcp_iflag_f32_e32 v1, v1
	v_mul_f32_e32 v1, 0x4f7ffffe, v1
	s_delay_alu instid0(VALU_DEP_1) | instskip(NEXT) | instid1(VALU_DEP_1)
	v_cvt_u32_f32_e32 v1, v1
	v_readfirstlane_b32 s4, v1
	s_wait_alu 0xfffe
	s_delay_alu instid0(VALU_DEP_1)
	s_mul_i32 s5, s5, s4
	s_wait_alu 0xfffe
	s_mul_hi_u32 s5, s4, s5
	s_wait_alu 0xfffe
	s_add_co_i32 s4, s4, s5
	s_wait_alu 0xfffe
	s_mul_hi_u32 s4, s16, s4
	s_wait_alu 0xfffe
	s_mul_i32 s5, s4, s20
	s_add_co_i32 s6, s4, 1
	s_wait_alu 0xfffe
	s_sub_co_i32 s5, s16, s5
	s_wait_alu 0xfffe
	s_sub_co_i32 s7, s5, s20
	s_cmp_ge_u32 s5, s20
	s_cselect_b32 s4, s6, s4
	s_wait_alu 0xfffe
	s_cselect_b32 s5, s7, s5
	s_add_co_i32 s6, s4, 1
	s_wait_alu 0xfffe
	s_cmp_ge_u32 s5, s20
	s_cselect_b32 s22, s6, s4
.LBB0_2:
	s_load_b64 s[24:25], s[0:1], 0x10
	s_load_b128 s[4:7], s[10:11], 0x0
	s_load_b64 s[12:13], s[0:1], 0x0
	s_mul_u64 s[14:15], s[22:23], s[20:21]
	s_delay_alu instid0(SALU_CYCLE_1) | instskip(NEXT) | instid1(SALU_CYCLE_1)
	s_sub_nc_u64 s[14:15], s[16:17], s[14:15]
	s_mul_u64 s[14:15], s[14:15], 9
	s_wait_kmcnt 0x0
	v_cmp_lt_u64_e64 s18, s[24:25], 3
	s_delay_alu instid0(VALU_DEP_1)
	s_and_b32 vcc_lo, exec_lo, s18
	s_mul_u64 s[18:19], s[6:7], s[14:15]
	s_cbranch_vccnz .LBB0_12
; %bb.3:
	s_add_nc_u64 s[26:27], s[10:11], 16
	s_add_nc_u64 s[8:9], s[8:9], 16
	s_mov_b64 s[28:29], 2
	s_mov_b32 s30, 0
.LBB0_4:                                ; =>This Inner Loop Header: Depth=1
	s_load_b64 s[34:35], s[8:9], 0x0
                                        ; implicit-def: $sgpr38_sgpr39
	s_wait_kmcnt 0x0
	s_or_b64 s[36:37], s[22:23], s[34:35]
	s_delay_alu instid0(SALU_CYCLE_1)
	s_mov_b32 s31, s37
	s_mov_b32 s37, -1
	s_wait_alu 0xfffe
	s_cmp_lg_u64 s[30:31], 0
	s_cbranch_scc0 .LBB0_6
; %bb.5:                                ;   in Loop: Header=BB0_4 Depth=1
	s_cvt_f32_u32 s31, s34
	s_cvt_f32_u32 s33, s35
	s_sub_nc_u64 s[40:41], 0, s[34:35]
	s_mov_b32 s37, 0
	s_mov_b32 s45, s30
	s_wait_alu 0xfffe
	s_fmamk_f32 s31, s33, 0x4f800000, s31
	s_wait_alu 0xfffe
	s_delay_alu instid0(SALU_CYCLE_2) | instskip(NEXT) | instid1(TRANS32_DEP_1)
	v_s_rcp_f32 s31, s31
	s_mul_f32 s31, s31, 0x5f7ffffc
	s_wait_alu 0xfffe
	s_delay_alu instid0(SALU_CYCLE_2) | instskip(NEXT) | instid1(SALU_CYCLE_3)
	s_mul_f32 s33, s31, 0x2f800000
	s_trunc_f32 s33, s33
	s_delay_alu instid0(SALU_CYCLE_3) | instskip(SKIP_2) | instid1(SALU_CYCLE_1)
	s_fmamk_f32 s31, s33, 0xcf800000, s31
	s_cvt_u32_f32 s39, s33
	s_wait_alu 0xfffe
	s_cvt_u32_f32 s38, s31
	s_wait_alu 0xfffe
	s_delay_alu instid0(SALU_CYCLE_2)
	s_mul_u64 s[42:43], s[40:41], s[38:39]
	s_wait_alu 0xfffe
	s_mul_hi_u32 s47, s38, s43
	s_mul_i32 s46, s38, s43
	s_mul_hi_u32 s36, s38, s42
	s_mul_i32 s33, s39, s42
	s_add_nc_u64 s[46:47], s[36:37], s[46:47]
	s_mul_hi_u32 s31, s39, s42
	s_mul_hi_u32 s48, s39, s43
	s_add_co_u32 s33, s46, s33
	s_wait_alu 0xfffe
	s_add_co_ci_u32 s44, s47, s31
	s_mul_i32 s42, s39, s43
	s_add_co_ci_u32 s43, s48, 0
	s_wait_alu 0xfffe
	s_add_nc_u64 s[42:43], s[44:45], s[42:43]
	s_wait_alu 0xfffe
	v_add_co_u32 v1, s31, s38, s42
	s_delay_alu instid0(VALU_DEP_1) | instskip(SKIP_1) | instid1(VALU_DEP_1)
	s_cmp_lg_u32 s31, 0
	s_add_co_ci_u32 s39, s39, s43
	v_readfirstlane_b32 s38, v1
	s_mov_b32 s43, s30
	s_wait_alu 0xfffe
	s_delay_alu instid0(VALU_DEP_1)
	s_mul_u64 s[40:41], s[40:41], s[38:39]
	s_wait_alu 0xfffe
	s_mul_hi_u32 s45, s38, s41
	s_mul_i32 s44, s38, s41
	s_mul_hi_u32 s36, s38, s40
	s_mul_i32 s33, s39, s40
	s_add_nc_u64 s[44:45], s[36:37], s[44:45]
	s_mul_hi_u32 s31, s39, s40
	s_mul_hi_u32 s38, s39, s41
	s_add_co_u32 s33, s44, s33
	s_wait_alu 0xfffe
	s_add_co_ci_u32 s42, s45, s31
	s_mul_i32 s40, s39, s41
	s_add_co_ci_u32 s41, s38, 0
	s_wait_alu 0xfffe
	s_add_nc_u64 s[40:41], s[42:43], s[40:41]
	s_wait_alu 0xfffe
	v_add_co_u32 v1, s31, v1, s40
	s_delay_alu instid0(VALU_DEP_1) | instskip(SKIP_1) | instid1(VALU_DEP_1)
	s_cmp_lg_u32 s31, 0
	s_add_co_ci_u32 s31, s39, s41
	v_readfirstlane_b32 s33, v1
	s_wait_alu 0xfffe
	s_mul_hi_u32 s39, s22, s31
	s_mul_i32 s38, s22, s31
	s_mul_hi_u32 s41, s23, s31
	s_mul_i32 s40, s23, s31
	;; [unrolled: 2-line block ×3, first 2 shown]
	s_wait_alu 0xfffe
	s_add_nc_u64 s[38:39], s[36:37], s[38:39]
	s_mul_hi_u32 s33, s23, s33
	s_wait_alu 0xfffe
	s_add_co_u32 s31, s38, s31
	s_add_co_ci_u32 s42, s39, s33
	s_add_co_ci_u32 s41, s41, 0
	s_wait_alu 0xfffe
	s_add_nc_u64 s[38:39], s[42:43], s[40:41]
	s_wait_alu 0xfffe
	s_mul_u64 s[40:41], s[34:35], s[38:39]
	s_add_nc_u64 s[42:43], s[38:39], 1
	s_wait_alu 0xfffe
	v_sub_co_u32 v1, s31, s22, s40
	s_sub_co_i32 s33, s23, s41
	s_cmp_lg_u32 s31, 0
	s_add_nc_u64 s[44:45], s[38:39], 2
	s_delay_alu instid0(VALU_DEP_1) | instskip(SKIP_2) | instid1(VALU_DEP_1)
	v_sub_co_u32 v2, s36, v1, s34
	s_sub_co_ci_u32 s33, s33, s35
	s_cmp_lg_u32 s36, 0
	v_readfirstlane_b32 s36, v2
	s_sub_co_ci_u32 s33, s33, 0
	s_delay_alu instid0(SALU_CYCLE_1) | instskip(SKIP_1) | instid1(VALU_DEP_1)
	s_cmp_ge_u32 s33, s35
	s_cselect_b32 s40, -1, 0
	s_cmp_ge_u32 s36, s34
	s_cselect_b32 s36, -1, 0
	s_cmp_eq_u32 s33, s35
	s_wait_alu 0xfffe
	s_cselect_b32 s33, s36, s40
	s_delay_alu instid0(SALU_CYCLE_1)
	s_cmp_lg_u32 s33, 0
	s_cselect_b32 s33, s44, s42
	s_cselect_b32 s36, s45, s43
	s_cmp_lg_u32 s31, 0
	v_readfirstlane_b32 s31, v1
	s_sub_co_ci_u32 s40, s23, s41
	s_wait_alu 0xfffe
	s_cmp_ge_u32 s40, s35
	s_cselect_b32 s41, -1, 0
	s_cmp_ge_u32 s31, s34
	s_cselect_b32 s31, -1, 0
	s_cmp_eq_u32 s40, s35
	s_wait_alu 0xfffe
	s_cselect_b32 s31, s31, s41
	s_wait_alu 0xfffe
	s_cmp_lg_u32 s31, 0
	s_cselect_b32 s39, s36, s39
	s_cselect_b32 s38, s33, s38
.LBB0_6:                                ;   in Loop: Header=BB0_4 Depth=1
	s_and_not1_b32 vcc_lo, exec_lo, s37
	s_cbranch_vccnz .LBB0_8
; %bb.7:                                ;   in Loop: Header=BB0_4 Depth=1
	v_cvt_f32_u32_e32 v1, s34
	s_sub_co_i32 s33, 0, s34
	s_mov_b32 s39, s30
	s_delay_alu instid0(VALU_DEP_1) | instskip(NEXT) | instid1(TRANS32_DEP_1)
	v_rcp_iflag_f32_e32 v1, v1
	v_mul_f32_e32 v1, 0x4f7ffffe, v1
	s_delay_alu instid0(VALU_DEP_1) | instskip(NEXT) | instid1(VALU_DEP_1)
	v_cvt_u32_f32_e32 v1, v1
	v_readfirstlane_b32 s31, v1
	s_delay_alu instid0(VALU_DEP_1) | instskip(NEXT) | instid1(SALU_CYCLE_1)
	s_mul_i32 s33, s33, s31
	s_mul_hi_u32 s33, s31, s33
	s_delay_alu instid0(SALU_CYCLE_1)
	s_add_co_i32 s31, s31, s33
	s_wait_alu 0xfffe
	s_mul_hi_u32 s31, s22, s31
	s_wait_alu 0xfffe
	s_mul_i32 s33, s31, s34
	s_add_co_i32 s36, s31, 1
	s_sub_co_i32 s33, s22, s33
	s_delay_alu instid0(SALU_CYCLE_1)
	s_sub_co_i32 s37, s33, s34
	s_cmp_ge_u32 s33, s34
	s_cselect_b32 s31, s36, s31
	s_cselect_b32 s33, s37, s33
	s_wait_alu 0xfffe
	s_add_co_i32 s36, s31, 1
	s_cmp_ge_u32 s33, s34
	s_cselect_b32 s38, s36, s31
.LBB0_8:                                ;   in Loop: Header=BB0_4 Depth=1
	s_load_b64 s[36:37], s[26:27], 0x0
	s_add_nc_u64 s[28:29], s[28:29], 1
	s_mul_u64 s[20:21], s[34:35], s[20:21]
	s_wait_alu 0xfffe
	v_cmp_ge_u64_e64 s31, s[28:29], s[24:25]
	s_mul_u64 s[34:35], s[38:39], s[34:35]
	s_add_nc_u64 s[26:27], s[26:27], 8
	s_wait_alu 0xfffe
	s_sub_nc_u64 s[22:23], s[22:23], s[34:35]
	s_add_nc_u64 s[8:9], s[8:9], 8
	s_and_b32 vcc_lo, exec_lo, s31
	s_wait_kmcnt 0x0
	s_wait_alu 0xfffe
	s_mul_u64 s[22:23], s[36:37], s[22:23]
	s_wait_alu 0xfffe
	s_add_nc_u64 s[18:19], s[22:23], s[18:19]
	s_cbranch_vccnz .LBB0_10
; %bb.9:                                ;   in Loop: Header=BB0_4 Depth=1
	s_mov_b64 s[22:23], s[38:39]
	s_branch .LBB0_4
.LBB0_10:
	v_cmp_lt_u64_e64 s8, s[16:17], s[20:21]
	s_mov_b64 s[22:23], 0
	s_delay_alu instid0(VALU_DEP_1)
	s_and_b32 vcc_lo, exec_lo, s8
	s_cbranch_vccnz .LBB0_12
; %bb.11:
	v_cvt_f32_u32_e32 v1, s20
	s_sub_co_i32 s9, 0, s20
	s_mov_b32 s23, 0
	s_delay_alu instid0(VALU_DEP_1) | instskip(NEXT) | instid1(TRANS32_DEP_1)
	v_rcp_iflag_f32_e32 v1, v1
	v_mul_f32_e32 v1, 0x4f7ffffe, v1
	s_delay_alu instid0(VALU_DEP_1) | instskip(NEXT) | instid1(VALU_DEP_1)
	v_cvt_u32_f32_e32 v1, v1
	v_readfirstlane_b32 s8, v1
	s_delay_alu instid0(VALU_DEP_1) | instskip(NEXT) | instid1(SALU_CYCLE_1)
	s_mul_i32 s9, s9, s8
	s_mul_hi_u32 s9, s8, s9
	s_delay_alu instid0(SALU_CYCLE_1) | instskip(NEXT) | instid1(SALU_CYCLE_1)
	s_add_co_i32 s8, s8, s9
	s_mul_hi_u32 s8, s16, s8
	s_delay_alu instid0(SALU_CYCLE_1) | instskip(NEXT) | instid1(SALU_CYCLE_1)
	s_mul_i32 s9, s8, s20
	s_sub_co_i32 s9, s16, s9
	s_add_co_i32 s16, s8, 1
	s_sub_co_i32 s17, s9, s20
	s_cmp_ge_u32 s9, s20
	s_wait_alu 0xfffe
	s_cselect_b32 s8, s16, s8
	s_cselect_b32 s9, s17, s9
	s_add_co_i32 s16, s8, 1
	s_cmp_ge_u32 s9, s20
	s_wait_alu 0xfffe
	s_cselect_b32 s22, s16, s8
.LBB0_12:
	v_mul_u32_u24_e32 v1, 0x1c72, v0
	s_lshl_b64 s[8:9], s[24:25], 3
	s_load_b64 s[0:1], s[0:1], 0x58
	s_add_nc_u64 s[8:9], s[10:11], s[8:9]
	s_add_nc_u64 s[10:11], s[14:15], 9
	v_lshrrev_b32_e32 v75, 16, v1
	v_cmp_le_u64_e64 s10, s[10:11], s[2:3]
	s_load_b64 s[8:9], s[8:9], 0x0
	s_delay_alu instid0(VALU_DEP_2)
	v_mul_lo_u16 v1, v75, 9
	v_add_nc_u32_e32 v2, 48, v75
	v_add_nc_u32_e32 v3, 0x70, v75
	v_add_nc_u32_e32 v255, 16, v75
	v_or_b32_e32 v79, 32, v75
	v_sub_nc_u16 v1, v0, v1
	s_delay_alu instid0(VALU_DEP_1)
	v_and_b32_e32 v78, 0xffff, v1
	v_or_b32_e32 v1, 64, v75
	scratch_store_b32 off, v1, off offset:32 ; 4-byte Folded Spill
	v_add_nc_u32_e32 v1, 0x50, v75
	s_wait_kmcnt 0x0
	s_mul_u64 s[8:9], s[8:9], s[22:23]
	scratch_store_b32 off, v1, off offset:28 ; 4-byte Folded Spill
	v_or_b32_e32 v1, 0x60, v75
	s_clause 0x1
	scratch_store_b32 off, v2, off offset:36
	scratch_store_b32 off, v1, off offset:24
	v_add_co_u32 v1, s11, s14, v78
	s_wait_alu 0xf1ff
	v_add_co_ci_u32_e64 v2, null, s15, 0, s11
	s_delay_alu instid0(VALU_DEP_1)
	v_cmp_gt_u64_e32 vcc_lo, s[2:3], v[1:2]
	v_add_nc_u32_e32 v1, 0x90, v75
	s_add_nc_u64 s[2:3], s[8:9], s[18:19]
	s_mov_b32 s8, 0
	scratch_store_b32 off, v1, off offset:12 ; 4-byte Folded Spill
	v_or_b32_e32 v1, 0xa0, v75
	scratch_store_b32 off, v3, off offset:20 ; 4-byte Folded Spill
	v_or_b32_e32 v3, 0x80, v75
	s_or_b32 s33, s10, vcc_lo
	scratch_store_b32 off, v1, off offset:4 ; 4-byte Folded Spill
	v_add_nc_u32_e32 v1, 0xb0, v75
	scratch_store_b32 off, v1, off offset:8 ; 4-byte Folded Spill
	v_or_b32_e32 v1, 0xc0, v75
	scratch_store_b32 off, v3, off offset:16 ; 4-byte Folded Spill
	v_mul_u32_u24_e32 v3, 0xd00, v78
	s_clause 0x1
	scratch_store_b32 off, v1, off
	scratch_store_b32 off, v3, off offset:40
	s_and_saveexec_b32 s9, s33
	s_cbranch_execz .LBB0_14
; %bb.13:
	v_mad_co_u64_u32 v[1:2], null, s6, v78, 0
	v_mad_co_u64_u32 v[3:4], null, s4, v75, 0
	v_add_nc_u32_e32 v14, 48, v75
	v_mad_co_u64_u32 v[5:6], null, s4, v255, 0
	v_mad_co_u64_u32 v[7:8], null, s4, v79, 0
	s_wait_alu 0xfffe
	s_lshl_b64 s[10:11], s[2:3], 4
	s_delay_alu instid0(VALU_DEP_4) | instskip(SKIP_1) | instid1(VALU_DEP_4)
	v_mad_co_u64_u32 v[9:10], null, s7, v78, v[2:3]
	v_mad_co_u64_u32 v[10:11], null, s4, v14, 0
	;; [unrolled: 1-line block ×3, first 2 shown]
	v_or_b32_e32 v15, 64, v75
	s_wait_alu 0xfffe
	s_add_nc_u64 s[10:11], s[0:1], s[10:11]
	s_delay_alu instid0(VALU_DEP_4) | instskip(SKIP_3) | instid1(VALU_DEP_4)
	v_mov_b32_e32 v2, v9
	v_or_b32_e32 v32, 0x80, v75
	v_mov_b32_e32 v9, v11
	v_mad_co_u64_u32 v[17:18], null, s4, v15, 0
	v_lshlrev_b64_e32 v[1:2], 4, v[1:2]
	v_mov_b32_e32 v4, v12
	v_mad_co_u64_u32 v[11:12], null, s5, v255, v[6:7]
	v_mad_co_u64_u32 v[12:13], null, s5, v79, v[8:9]
	s_wait_alu 0xfffe
	s_delay_alu instid0(VALU_DEP_4)
	v_add_co_u32 v49, vcc_lo, s10, v1
	v_add_co_ci_u32_e32 v50, vcc_lo, s11, v2, vcc_lo
	v_mad_co_u64_u32 v[1:2], null, s5, v14, v[9:10]
	v_or_b32_e32 v23, 0x60, v75
	v_dual_mov_b32 v6, v11 :: v_dual_add_nc_u32 v29, 0x70, v75
	v_mad_co_u64_u32 v[33:34], null, s4, v32, 0
	s_delay_alu instid0(VALU_DEP_3)
	v_mad_co_u64_u32 v[25:26], null, s4, v23, 0
	v_mov_b32_e32 v11, v1
	v_mov_b32_e32 v1, v18
	v_lshlrev_b64_e32 v[3:4], 4, v[3:4]
	v_mov_b32_e32 v8, v12
	v_dual_mov_b32 v31, v34 :: v_dual_add_nc_u32 v12, 0x50, v75
	v_mad_co_u64_u32 v[27:28], null, s4, v29, 0
	s_delay_alu instid0(VALU_DEP_4)
	v_add_co_u32 v2, vcc_lo, v49, v3
	s_wait_alu 0xfffd
	v_add_co_ci_u32_e32 v3, vcc_lo, v50, v4, vcc_lo
	v_lshlrev_b64_e32 v[4:5], 4, v[5:6]
	v_mad_co_u64_u32 v[19:20], null, s4, v12, 0
	v_lshlrev_b64_e32 v[6:7], 4, v[7:8]
	v_mad_co_u64_u32 v[15:16], null, s5, v15, v[1:2]
	s_delay_alu instid0(VALU_DEP_4)
	v_add_co_u32 v8, vcc_lo, v49, v4
	s_wait_alu 0xfffd
	v_add_co_ci_u32_e32 v9, vcc_lo, v50, v5, vcc_lo
	v_lshlrev_b64_e32 v[4:5], 4, v[10:11]
	v_add_co_u32 v10, vcc_lo, v49, v6
	v_dual_mov_b32 v6, v20 :: v_dual_add_nc_u32 v41, 0x90, v75
	v_mov_b32_e32 v22, v28
	s_wait_alu 0xfffd
	v_add_co_ci_u32_e32 v11, vcc_lo, v50, v7, vcc_lo
	s_delay_alu instid0(VALU_DEP_3) | instskip(SKIP_4) | instid1(VALU_DEP_4)
	v_mad_co_u64_u32 v[20:21], null, s5, v12, v[6:7]
	v_mov_b32_e32 v21, v26
	v_mad_co_u64_u32 v[35:36], null, s4, v41, 0
	v_mov_b32_e32 v18, v15
	v_add_co_u32 v13, vcc_lo, v49, v4
	v_mad_co_u64_u32 v[23:24], null, s5, v23, v[21:22]
	s_delay_alu instid0(VALU_DEP_3)
	v_lshlrev_b64_e32 v[17:18], 4, v[17:18]
	v_lshlrev_b64_e32 v[19:20], 4, v[19:20]
	s_wait_alu 0xfffd
	v_add_co_ci_u32_e32 v14, vcc_lo, v50, v5, vcc_lo
	s_clause 0x3
	global_load_b128 v[1:4], v[2:3], off
	global_load_b128 v[5:8], v[8:9], off
	;; [unrolled: 1-line block ×4, first 2 shown]
	v_add_co_u32 v17, vcc_lo, v49, v17
	v_mad_co_u64_u32 v[21:22], null, s5, v29, v[22:23]
	s_wait_alu 0xfffd
	v_add_co_ci_u32_e32 v18, vcc_lo, v50, v18, vcc_lo
	v_add_co_u32 v29, vcc_lo, v49, v19
	s_wait_alu 0xfffd
	v_add_co_ci_u32_e32 v30, vcc_lo, v50, v20, vcc_lo
	v_dual_mov_b32 v26, v23 :: v_dual_lshlrev_b32 v53, 4, v75
	v_mov_b32_e32 v28, v21
	s_clause 0x1
	global_load_b128 v[17:20], v[17:18], off
	global_load_b128 v[21:24], v[29:30], off
	v_mad_co_u64_u32 v[29:30], null, s5, v32, v[31:32]
	v_or_b32_e32 v32, 0xa0, v75
	v_lshlrev_b64_e32 v[25:26], 4, v[25:26]
	v_lshlrev_b64_e32 v[27:28], 4, v[27:28]
	v_add_nc_u32_e32 v46, 0xb0, v75
	v_or_b32_e32 v45, 0xc0, v75
	v_mad_co_u64_u32 v[37:38], null, s4, v32, 0
	v_add_co_u32 v25, vcc_lo, v49, v25
	s_wait_alu 0xfffd
	v_add_co_ci_u32_e32 v26, vcc_lo, v50, v26, vcc_lo
	v_add_co_u32 v30, vcc_lo, v49, v27
	s_wait_alu 0xfffd
	v_add_co_ci_u32_e32 v31, vcc_lo, v50, v28, vcc_lo
	v_dual_mov_b32 v27, v36 :: v_dual_mov_b32 v28, v38
	v_mad_co_u64_u32 v[39:40], null, s4, v46, 0
	v_mov_b32_e32 v34, v29
	v_mul_u32_u24_e32 v54, 0xd00, v78
	s_delay_alu instid0(VALU_DEP_4)
	v_mad_co_u64_u32 v[41:42], null, s5, v41, v[27:28]
	v_mad_co_u64_u32 v[42:43], null, s5, v32, v[28:29]
	;; [unrolled: 1-line block ×3, first 2 shown]
	v_lshlrev_b64_e32 v[33:34], 4, v[33:34]
	s_clause 0x1
	global_load_b128 v[25:28], v[25:26], off
	global_load_b128 v[29:32], v[30:31], off
	v_mov_b32_e32 v36, v41
	v_mad_co_u64_u32 v[40:41], null, s5, v46, v[40:41]
	v_dual_mov_b32 v38, v42 :: v_dual_mov_b32 v41, v44
	s_delay_alu instid0(VALU_DEP_3) | instskip(SKIP_1) | instid1(VALU_DEP_3)
	v_lshlrev_b64_e32 v[35:36], 4, v[35:36]
	v_add_co_u32 v33, vcc_lo, v49, v33
	v_lshlrev_b64_e32 v[37:38], 4, v[37:38]
	s_delay_alu instid0(VALU_DEP_4)
	v_mad_co_u64_u32 v[41:42], null, s5, v45, v[41:42]
	s_wait_alu 0xfffd
	v_add_co_ci_u32_e32 v34, vcc_lo, v50, v34, vcc_lo
	v_add_co_u32 v45, vcc_lo, v49, v35
	s_wait_alu 0xfffd
	v_add_co_ci_u32_e32 v46, vcc_lo, v50, v36, vcc_lo
	s_delay_alu instid0(VALU_DEP_4)
	v_mov_b32_e32 v44, v41
	v_lshlrev_b64_e32 v[35:36], 4, v[39:40]
	v_add_co_u32 v41, vcc_lo, v49, v37
	s_wait_alu 0xfffd
	v_add_co_ci_u32_e32 v42, vcc_lo, v50, v38, vcc_lo
	v_lshlrev_b64_e32 v[37:38], 4, v[43:44]
	s_delay_alu instid0(VALU_DEP_4) | instskip(SKIP_3) | instid1(VALU_DEP_4)
	v_add_co_u32 v47, vcc_lo, v49, v35
	s_wait_alu 0xfffd
	v_add_co_ci_u32_e32 v48, vcc_lo, v50, v36, vcc_lo
	v_add3_u32 v53, 0, v54, v53
	v_add_co_u32 v49, vcc_lo, v49, v37
	s_wait_alu 0xfffd
	v_add_co_ci_u32_e32 v50, vcc_lo, v50, v38, vcc_lo
	s_clause 0x4
	global_load_b128 v[33:36], v[33:34], off
	global_load_b128 v[37:40], v[45:46], off
	;; [unrolled: 1-line block ×5, first 2 shown]
	s_wait_loadcnt 0xc
	ds_store_b128 v53, v[1:4]
	s_wait_loadcnt 0xb
	ds_store_b128 v53, v[5:8] offset:256
	s_wait_loadcnt 0xa
	ds_store_b128 v53, v[9:12] offset:512
	;; [unrolled: 2-line block ×12, first 2 shown]
.LBB0_14:
	s_or_b32 exec_lo, exec_lo, s9
	s_mov_b32 s10, 0x71c4fc00
	s_movk_i32 s11, 0x7c
	s_mov_b32 s9, s8
	s_mov_b32 s21, s8
	s_wait_alu 0xfffe
	s_add_nc_u64 s[10:11], s[8:9], s[10:11]
	v_lshrrev_b32_e32 v1, 4, v0
	s_wait_alu 0xfffe
	s_add_co_i32 s11, s11, 0x1c71c6a0
	global_wb scope:SCOPE_SE
	s_wait_storecnt_dscnt 0x0
	s_wait_alu 0xfffe
	s_mul_u64 s[16:17], s[10:11], -9
	s_barrier_signal -1
	s_wait_alu 0xfffe
	s_mul_hi_u32 s19, s10, s17
	s_mul_i32 s18, s10, s17
	s_mul_hi_u32 s20, s10, s16
	s_mul_hi_u32 s9, s11, s16
	s_mul_i32 s16, s11, s16
	s_wait_alu 0xfffe
	s_add_nc_u64 s[18:19], s[20:21], s[18:19]
	s_mul_hi_u32 s20, s11, s17
	s_add_co_u32 s16, s18, s16
	s_add_co_ci_u32 s16, s19, s9
	s_wait_alu 0xfffe
	s_add_co_ci_u32 s19, s20, 0
	s_mul_i32 s18, s11, s17
	s_mov_b32 s17, s8
	s_barrier_wait -1
	s_wait_alu 0xfffe
	s_add_nc_u64 s[8:9], s[16:17], s[18:19]
	global_inv scope:SCOPE_SE
	v_add_co_u32 v3, s8, s10, s8
	s_delay_alu instid0(VALU_DEP_1) | instskip(SKIP_4) | instid1(VALU_DEP_2)
	s_cmp_lg_u32 s8, 0
	v_add_co_u32 v5, s8, s14, v1
	s_add_co_ci_u32 s9, s11, s9
	v_add_co_ci_u32_e64 v6, null, s15, 0, s8
	s_wait_alu 0xfffe
	v_mad_co_u64_u32 v[1:2], null, v5, s9, 0
	v_mul_hi_u32 v7, v5, v3
	s_delay_alu instid0(VALU_DEP_3)
	v_mad_co_u64_u32 v[3:4], null, v6, v3, 0
	s_mov_b32 s24, 0x42a4c3d2
	s_mov_b32 s30, 0x66966769
	;; [unrolled: 1-line block ×5, first 2 shown]
	s_delay_alu instid0(VALU_DEP_2) | instskip(SKIP_3) | instid1(VALU_DEP_3)
	v_add_co_u32 v7, vcc_lo, v7, v1
	s_wait_alu 0xfffd
	v_add_co_ci_u32_e32 v8, vcc_lo, 0, v2, vcc_lo
	v_mad_co_u64_u32 v[1:2], null, v6, s9, 0
	v_add_co_u32 v3, vcc_lo, v7, v3
	s_wait_alu 0xfffd
	s_delay_alu instid0(VALU_DEP_3) | instskip(SKIP_3) | instid1(VALU_DEP_3)
	v_add_co_ci_u32_e32 v3, vcc_lo, v8, v4, vcc_lo
	s_mov_b32 s21, 0xbfddbe06
	s_mov_b32 s20, 0x4267c47c
	s_wait_alu 0xfffd
	v_add_co_ci_u32_e32 v2, vcc_lo, 0, v2, vcc_lo
	v_add_co_u32 v1, vcc_lo, v3, v1
	s_mov_b32 s25, 0xbfea55e2
	s_wait_alu 0xfffd
	s_delay_alu instid0(VALU_DEP_2) | instskip(NEXT) | instid1(VALU_DEP_2)
	v_add_co_ci_u32_e32 v3, vcc_lo, 0, v2, vcc_lo
	v_mad_co_u64_u32 v[1:2], null, v1, 9, 0
	s_mov_b32 s31, 0xbfefc445
	s_mov_b32 s23, 0xbfedeba7
	;; [unrolled: 1-line block ×6, first 2 shown]
	s_delay_alu instid0(VALU_DEP_1)
	v_mad_co_u64_u32 v[2:3], null, v3, 9, v[2:3]
	v_sub_co_u32 v1, vcc_lo, v5, v1
	s_mov_b32 s18, 0xebaa3ed8
	s_mov_b32 s14, 0xb2365da1
	;; [unrolled: 1-line block ×4, first 2 shown]
	s_wait_alu 0xfffd
	s_delay_alu instid0(VALU_DEP_2) | instskip(SKIP_3) | instid1(VALU_DEP_2)
	v_sub_co_ci_u32_e32 v2, vcc_lo, v6, v2, vcc_lo
	v_sub_co_u32 v3, vcc_lo, v1, 9
	s_mov_b32 s9, 0x3fec55a7
	s_wait_alu 0xfffd
	v_subrev_co_ci_u32_e32 v4, vcc_lo, 0, v2, vcc_lo
	s_delay_alu instid0(VALU_DEP_2)
	v_cmp_lt_u32_e32 vcc_lo, 8, v3
	s_mov_b32 s11, 0x3fe22d96
	s_mov_b32 s19, 0x3fbedb7d
	;; [unrolled: 1-line block ×4, first 2 shown]
	s_wait_alu 0xfffd
	v_cndmask_b32_e64 v5, 0, -1, vcc_lo
	v_cmp_lt_u32_e32 vcc_lo, 8, v1
	s_mov_b32 s29, 0xbfef11f4
	s_mov_b32 s39, 0x3fe5384d
	;; [unrolled: 1-line block ×4, first 2 shown]
	s_wait_alu 0xfffd
	v_cndmask_b32_e64 v6, 0, -1, vcc_lo
	v_cmp_eq_u32_e32 vcc_lo, 0, v4
	s_wait_alu 0xfffe
	s_mov_b32 s36, s30
	s_mov_b32 s45, 0x3fedeba7
	;; [unrolled: 1-line block ×4, first 2 shown]
	s_wait_alu 0xfffd
	v_dual_cndmask_b32 v4, -1, v5 :: v_dual_add_nc_u32 v5, -9, v3
	v_cmp_eq_u32_e32 vcc_lo, 0, v2
	v_and_b32_e32 v82, 15, v0
	s_mov_b32 s43, 0x3fea55e2
	s_mov_b32 s40, s34
	;; [unrolled: 1-line block ×3, first 2 shown]
	s_wait_alu 0xfffd
	v_cndmask_b32_e32 v2, -1, v6, vcc_lo
	v_cmp_ne_u32_e32 vcc_lo, 0, v4
	s_wait_alu 0xfffd
	v_cndmask_b32_e32 v3, v3, v5, vcc_lo
	s_delay_alu instid0(VALU_DEP_3) | instskip(SKIP_1) | instid1(VALU_DEP_2)
	v_cmp_ne_u32_e32 vcc_lo, 0, v2
	s_wait_alu 0xfffd
	v_cndmask_b32_e32 v1, v1, v3, vcc_lo
	v_cmp_gt_u32_e32 vcc_lo, 13, v82
	s_delay_alu instid0(VALU_DEP_2) | instskip(NEXT) | instid1(VALU_DEP_1)
	v_mul_u32_u24_e32 v1, 0xd0, v1
	v_lshlrev_b32_e32 v0, 4, v1
	v_lshlrev_b32_e32 v1, 4, v82
	s_delay_alu instid0(VALU_DEP_2) | instskip(NEXT) | instid1(VALU_DEP_2)
	v_add_nc_u32_e32 v54, 0, v0
	v_add3_u32 v80, 0, v1, v0
	s_delay_alu instid0(VALU_DEP_2)
	v_add_nc_u32_e32 v81, v54, v1
	ds_load_b128 v[12:15], v80 offset:256
	ds_load_b128 v[4:7], v81
	ds_load_b128 v[24:27], v80 offset:512
	ds_load_b128 v[28:31], v80 offset:768
	;; [unrolled: 1-line block ×3, first 2 shown]
	s_wait_dscnt 0x3
	v_add_f64_e32 v[0:1], v[4:5], v[12:13]
	v_add_f64_e32 v[2:3], v[6:7], v[14:15]
	s_wait_dscnt 0x0
	v_add_f64_e64 v[99:100], v[26:27], -v[10:11]
	v_add_f64_e64 v[101:102], v[24:25], -v[8:9]
	s_delay_alu instid0(VALU_DEP_4) | instskip(NEXT) | instid1(VALU_DEP_4)
	v_add_f64_e32 v[36:37], v[0:1], v[24:25]
	v_add_f64_e32 v[38:39], v[2:3], v[26:27]
	ds_load_b128 v[0:3], v80 offset:3072
	ds_load_b128 v[16:19], v80 offset:2560
	;; [unrolled: 1-line block ×8, first 2 shown]
	v_add_f64_e32 v[24:25], v[24:25], v[8:9]
	v_add_f64_e32 v[26:27], v[26:27], v[10:11]
	global_wb scope:SCOPE_SE
	s_wait_dscnt 0x0
	s_barrier_signal -1
	s_barrier_wait -1
	global_inv scope:SCOPE_SE
	v_mul_f64_e32 v[129:130], s[24:25], v[99:100]
	v_mul_f64_e32 v[131:132], s[24:25], v[101:102]
	;; [unrolled: 1-line block ×10, first 2 shown]
	v_add_f64_e64 v[105:106], v[28:29], -v[16:17]
	v_add_f64_e64 v[91:92], v[14:15], -v[2:3]
	;; [unrolled: 1-line block ×3, first 2 shown]
	v_add_f64_e32 v[42:43], v[55:56], v[20:21]
	v_add_f64_e32 v[40:41], v[57:58], v[22:23]
	v_add_f64_e64 v[111:112], v[55:56], -v[20:21]
	v_add_f64_e64 v[93:94], v[12:13], -v[0:1]
	v_add_f64_e32 v[107:108], v[12:13], v[0:1]
	v_add_f64_e32 v[109:110], v[14:15], v[2:3]
	v_add_f64_e64 v[103:104], v[30:31], -v[18:19]
	v_add_f64_e32 v[12:13], v[83:84], v[87:88]
	v_add_f64_e32 v[14:15], v[85:86], v[89:90]
	v_add_f64_e64 v[50:51], v[83:84], -v[87:88]
	v_add_f64_e64 v[52:53], v[85:86], -v[89:90]
	;; [unrolled: 1-line block ×4, first 2 shown]
	v_add_f64_e32 v[95:96], v[36:37], v[28:29]
	v_add_f64_e32 v[97:98], v[38:39], v[30:31]
	;; [unrolled: 1-line block ×6, first 2 shown]
	v_fma_f64 v[241:242], v[26:27], s[10:11], -v[131:132]
	v_fma_f64 v[247:248], v[24:25], s[14:15], -v[139:140]
	v_fma_f64 v[249:250], v[26:27], s[14:15], v[141:142]
	v_fma_f64 v[63:64], v[24:25], s[28:29], -v[149:150]
	v_fma_f64 v[65:66], v[26:27], s[28:29], v[151:152]
	;; [unrolled: 2-line block ×3, first 2 shown]
	v_fma_f64 v[139:140], v[24:25], s[14:15], v[139:140]
	v_fma_f64 v[149:150], v[24:25], s[28:29], v[149:150]
	v_mul_f64_e32 v[173:174], s[26:27], v[105:106]
	v_mul_f64_e32 v[113:114], s[20:21], v[91:92]
	;; [unrolled: 1-line block ×10, first 2 shown]
	s_mov_b32 s21, 0x3fddbe06
	v_mul_f64_e32 v[133:134], s[30:31], v[103:104]
	s_wait_alu 0xfffe
	v_mul_f64_e32 v[99:100], s[20:21], v[99:100]
	v_mul_f64_e32 v[101:102], s[20:21], v[101:102]
	;; [unrolled: 1-line block ×5, first 2 shown]
	v_add_f64_e32 v[55:56], v[95:96], v[55:56]
	v_add_f64_e32 v[57:58], v[97:98], v[57:58]
	v_mul_f64_e32 v[95:96], s[26:27], v[91:92]
	v_mul_f64_e32 v[91:92], s[34:35], v[91:92]
	;; [unrolled: 1-line block ×10, first 2 shown]
	v_fma_f64 v[157:158], v[24:25], s[16:17], v[157:158]
	v_fma_f64 v[76:77], v[24:25], s[18:19], -v[163:164]
	v_fma_f64 v[163:164], v[24:25], s[18:19], v[163:164]
	v_fma_f64 v[131:132], v[26:27], s[10:11], v[131:132]
	v_fma_f64 v[141:142], v[26:27], s[14:15], -v[141:142]
	v_fma_f64 v[151:152], v[26:27], s[28:29], -v[151:152]
	;; [unrolled: 1-line block ×3, first 2 shown]
	v_mul_f64_e32 v[137:138], s[22:23], v[44:45]
	v_mul_f64_e32 v[147:148], s[38:39], v[44:45]
	;; [unrolled: 1-line block ×3, first 2 shown]
	v_fma_f64 v[223:224], v[107:108], s[8:9], -v[113:114]
	v_fma_f64 v[113:114], v[107:108], s[8:9], v[113:114]
	v_fma_f64 v[227:228], v[107:108], s[10:11], -v[117:118]
	v_fma_f64 v[117:118], v[107:108], s[10:11], v[117:118]
	;; [unrolled: 2-line block ×6, first 2 shown]
	v_fma_f64 v[235:236], v[109:110], s[14:15], v[125:126]
	v_fma_f64 v[125:126], v[109:110], s[14:15], -v[125:126]
	v_fma_f64 v[237:238], v[109:110], s[16:17], v[127:128]
	v_fma_f64 v[127:128], v[109:110], s[16:17], -v[127:128]
	v_add_f64_e32 v[55:56], v[55:56], v[59:60]
	v_add_f64_e32 v[57:58], v[57:58], v[61:62]
	v_mul_f64_e32 v[175:176], s[40:41], v[44:45]
	v_mul_f64_e32 v[177:178], s[42:43], v[44:45]
	;; [unrolled: 1-line block ×3, first 2 shown]
	v_fma_f64 v[239:240], v[109:110], s[28:29], v[93:94]
	v_fma_f64 v[93:94], v[109:110], s[28:29], -v[93:94]
	v_mul_f64_e32 v[181:182], s[38:39], v[111:112]
	v_mul_f64_e32 v[183:184], s[30:31], v[111:112]
	;; [unrolled: 1-line block ×4, first 2 shown]
	v_fma_f64 v[243:244], v[28:29], s[18:19], v[133:134]
	v_fma_f64 v[245:246], v[30:31], s[18:19], -v[135:136]
	v_fma_f64 v[251:252], v[28:29], s[28:29], -v[143:144]
	v_fma_f64 v[253:254], v[30:31], s[28:29], v[145:146]
	v_fma_f64 v[67:68], v[28:29], s[14:15], -v[153:154]
	v_fma_f64 v[69:70], v[30:31], s[14:15], v[155:156]
	;; [unrolled: 2-line block ×3, first 2 shown]
	v_fma_f64 v[153:154], v[28:29], s[14:15], v[153:154]
	v_fma_f64 v[135:136], v[30:31], s[18:19], v[135:136]
	v_fma_f64 v[145:146], v[30:31], s[28:29], -v[145:146]
	v_add_f64_e32 v[223:224], v[4:5], v[223:224]
	v_add_f64_e32 v[113:114], v[4:5], v[113:114]
	;; [unrolled: 1-line block ×18, first 2 shown]
	v_fma_f64 v[83:84], v[107:108], s[16:17], -v[95:96]
	v_fma_f64 v[85:86], v[107:108], s[16:17], v[95:96]
	v_fma_f64 v[95:96], v[107:108], s[28:29], -v[91:92]
	v_fma_f64 v[91:92], v[107:108], s[28:29], v[91:92]
	v_fma_f64 v[107:108], v[109:110], s[18:19], v[97:98]
	v_fma_f64 v[97:98], v[109:110], s[18:19], -v[97:98]
	v_fma_f64 v[109:110], v[24:25], s[10:11], v[129:130]
	v_fma_f64 v[129:130], v[24:25], s[10:11], -v[129:130]
	v_add_f64_e32 v[239:240], v[6:7], v[239:240]
	v_fma_f64 v[155:156], v[30:31], s[14:15], -v[155:156]
	v_mul_f64_e32 v[44:45], s[20:21], v[44:45]
	v_mul_f64_e32 v[111:112], s[20:21], v[111:112]
	;; [unrolled: 1-line block ×12, first 2 shown]
	v_add_f64_e32 v[227:228], v[247:248], v[227:228]
	v_add_f64_e32 v[117:118], v[139:140], v[117:118]
	;; [unrolled: 1-line block ×12, first 2 shown]
	v_mul_f64_e32 v[48:49], s[20:21], v[48:49]
	v_mul_f64_e32 v[46:47], s[20:21], v[46:47]
	v_add_f64_e32 v[55:56], v[55:56], v[87:88]
	v_add_f64_e32 v[57:58], v[57:58], v[89:90]
	v_fma_f64 v[87:88], v[26:27], s[18:19], v[165:166]
	v_fma_f64 v[89:90], v[26:27], s[18:19], -v[165:166]
	v_add_f64_e32 v[83:84], v[4:5], v[83:84]
	v_add_f64_e32 v[85:86], v[4:5], v[85:86]
	;; [unrolled: 1-line block ×7, first 2 shown]
	v_fma_f64 v[165:166], v[28:29], s[10:11], -v[167:168]
	v_fma_f64 v[167:168], v[28:29], s[10:11], v[167:168]
	v_fma_f64 v[91:92], v[28:29], s[16:17], -v[169:170]
	v_fma_f64 v[93:94], v[28:29], s[16:17], v[169:170]
	v_fma_f64 v[169:170], v[30:31], s[10:11], v[171:172]
	v_fma_f64 v[171:172], v[30:31], s[10:11], -v[171:172]
	v_add_f64_e32 v[109:110], v[109:110], v[113:114]
	v_add_f64_e32 v[129:130], v[129:130], v[223:224]
	v_fma_f64 v[113:114], v[42:43], s[14:15], v[137:138]
	v_fma_f64 v[137:138], v[42:43], s[14:15], -v[137:138]
	v_fma_f64 v[241:242], v[42:43], s[16:17], -v[147:148]
	v_fma_f64 v[147:148], v[42:43], s[16:17], v[147:148]
	v_fma_f64 v[247:248], v[42:43], s[18:19], -v[161:162]
	v_fma_f64 v[161:162], v[42:43], s[18:19], v[161:162]
	v_fma_f64 v[249:250], v[42:43], s[28:29], -v[175:176]
	v_fma_f64 v[175:176], v[42:43], s[28:29], v[175:176]
	v_fma_f64 v[231:232], v[42:43], s[10:11], -v[177:178]
	v_fma_f64 v[177:178], v[42:43], s[10:11], v[177:178]
	v_fma_f64 v[233:234], v[40:41], s[16:17], v[181:182]
	v_fma_f64 v[181:182], v[40:41], s[16:17], -v[181:182]
	v_fma_f64 v[235:236], v[40:41], s[18:19], v[183:184]
	v_fma_f64 v[183:184], v[40:41], s[18:19], -v[183:184]
	;; [unrolled: 2-line block ×4, first 2 shown]
	v_fma_f64 v[225:226], v[42:43], s[8:9], -v[44:45]
	v_add_f64_e32 v[32:33], v[55:56], v[32:33]
	v_add_f64_e32 v[34:35], v[57:58], v[34:35]
	v_fma_f64 v[55:56], v[30:31], s[16:17], v[173:174]
	v_fma_f64 v[57:58], v[30:31], s[16:17], -v[173:174]
	v_fma_f64 v[173:174], v[24:25], s[8:9], -v[99:100]
	v_fma_f64 v[24:25], v[24:25], s[8:9], v[99:100]
	v_fma_f64 v[99:100], v[26:27], s[8:9], v[101:102]
	v_fma_f64 v[26:27], v[26:27], s[8:9], -v[101:102]
	v_fma_f64 v[101:102], v[28:29], s[8:9], -v[103:104]
	v_fma_f64 v[28:29], v[28:29], s[8:9], v[103:104]
	v_fma_f64 v[103:104], v[30:31], s[8:9], v[105:106]
	v_fma_f64 v[30:31], v[30:31], s[8:9], -v[105:106]
	v_add_f64_e32 v[65:66], v[65:66], v[107:108]
	v_add_f64_e32 v[97:98], v[151:152], v[97:98]
	;; [unrolled: 1-line block ×6, first 2 shown]
	v_fma_f64 v[107:108], v[40:41], s[14:15], -v[179:180]
	v_fma_f64 v[179:180], v[40:41], s[14:15], v[179:180]
	v_fma_f64 v[42:43], v[42:43], s[8:9], v[44:45]
	;; [unrolled: 1-line block ×3, first 2 shown]
	v_fma_f64 v[40:41], v[40:41], s[8:9], -v[111:112]
	v_add_f64_e32 v[109:110], v[243:244], v[109:110]
	v_add_f64_e32 v[115:116], v[245:246], v[115:116]
	v_add_f64_e32 v[227:228], v[251:252], v[227:228]
	v_add_f64_e32 v[229:230], v[253:254], v[229:230]
	v_add_f64_e32 v[63:64], v[67:68], v[63:64]
	v_mul_f64_e32 v[189:190], s[34:35], v[52:53]
	v_mul_f64_e32 v[191:192], s[34:35], v[50:51]
	;; [unrolled: 1-line block ×10, first 2 shown]
	v_add_f64_e32 v[20:21], v[32:33], v[20:21]
	v_add_f64_e32 v[22:23], v[34:35], v[22:23]
	v_mul_f64_e32 v[52:53], s[20:21], v[52:53]
	v_mul_f64_e32 v[50:51], s[20:21], v[50:51]
	v_add_f64_e32 v[95:96], v[173:174], v[95:96]
	v_add_f64_e32 v[4:5], v[24:25], v[4:5]
	;; [unrolled: 1-line block ×15, first 2 shown]
	v_fma_f64 v[141:142], v[38:39], s[16:17], v[61:62]
	v_fma_f64 v[149:150], v[36:37], s[16:17], -v[187:188]
	v_fma_f64 v[83:84], v[38:39], s[18:19], -v[193:194]
	v_fma_f64 v[237:238], v[36:37], s[18:19], v[195:196]
	v_fma_f64 v[163:164], v[38:39], s[10:11], -v[197:198]
	v_fma_f64 v[127:128], v[36:37], s[10:11], v[199:200]
	;; [unrolled: 2-line block ×4, first 2 shown]
	v_fma_f64 v[197:198], v[38:39], s[10:11], v[197:198]
	v_fma_f64 v[205:206], v[38:39], s[28:29], v[205:206]
	v_fma_f64 v[111:112], v[38:39], s[14:15], -v[213:214]
	v_fma_f64 v[213:214], v[38:39], s[14:15], v[213:214]
	v_fma_f64 v[187:188], v[36:37], s[16:17], v[187:188]
	v_fma_f64 v[195:196], v[36:37], s[18:19], -v[195:196]
	v_fma_f64 v[199:200], v[36:37], s[10:11], -v[199:200]
	;; [unrolled: 1-line block ×3, first 2 shown]
	v_fma_f64 v[243:244], v[36:37], s[14:15], v[215:216]
	v_fma_f64 v[32:33], v[36:37], s[14:15], -v[215:216]
	v_fma_f64 v[123:124], v[38:39], s[8:9], -v[48:49]
	v_fma_f64 v[38:39], v[38:39], s[8:9], v[48:49]
	v_fma_f64 v[48:49], v[36:37], s[8:9], v[46:47]
	v_add_f64_e32 v[91:92], v[91:92], v[95:96]
	v_add_f64_e32 v[4:5], v[93:94], v[4:5]
	;; [unrolled: 1-line block ×8, first 2 shown]
	v_fma_f64 v[36:37], v[36:37], s[8:9], -v[46:47]
	v_add_f64_e32 v[46:47], v[113:114], v[109:110]
	v_add_f64_e32 v[107:108], v[107:108], v[115:116]
	;; [unrolled: 1-line block ×18, first 2 shown]
	v_fma_f64 v[151:152], v[12:13], s[28:29], v[189:190]
	v_fma_f64 v[157:158], v[14:15], s[28:29], -v[191:192]
	v_fma_f64 v[173:174], v[12:13], s[16:17], -v[201:202]
	v_fma_f64 v[239:240], v[14:15], s[16:17], v[203:204]
	v_fma_f64 v[159:160], v[12:13], s[10:11], -v[209:210]
	v_fma_f64 v[34:35], v[14:15], s[10:11], v[211:212]
	;; [unrolled: 2-line block ×3, first 2 shown]
	v_fma_f64 v[103:104], v[12:13], s[10:11], v[209:210]
	v_fma_f64 v[117:118], v[12:13], s[14:15], -v[217:218]
	v_fma_f64 v[119:120], v[12:13], s[14:15], v[217:218]
	v_add_f64_e32 v[87:88], v[231:232], v[91:92]
	v_add_f64_e32 v[4:5], v[177:178], v[4:5]
	;; [unrolled: 1-line block ×8, first 2 shown]
	v_fma_f64 v[121:122], v[12:13], s[18:19], -v[219:220]
	v_fma_f64 v[91:92], v[12:13], s[18:19], v[219:220]
	v_fma_f64 v[93:94], v[14:15], s[18:19], v[221:222]
	v_fma_f64 v[95:96], v[14:15], s[18:19], -v[221:222]
	v_fma_f64 v[22:23], v[14:15], s[14:15], v[105:106]
	v_fma_f64 v[101:102], v[14:15], s[14:15], -v[105:106]
	v_fma_f64 v[105:106], v[14:15], s[10:11], -v[211:212]
	v_fma_f64 v[115:116], v[14:15], s[16:17], -v[203:204]
	v_fma_f64 v[125:126], v[14:15], s[28:29], v[191:192]
	v_fma_f64 v[20:21], v[12:13], s[8:9], -v[52:53]
	v_fma_f64 v[129:130], v[14:15], s[8:9], v[50:51]
	v_fma_f64 v[52:53], v[12:13], s[8:9], v[52:53]
	v_fma_f64 v[131:132], v[14:15], s[8:9], -v[50:51]
	v_add_f64_e32 v[12:13], v[141:142], v[46:47]
	v_add_f64_e32 v[14:15], v[149:150], v[107:108]
	;; [unrolled: 1-line block ×52, first 2 shown]
                                        ; kill: def $vgpr52_vgpr53 killed $sgpr0_sgpr1 killed $exec
                                        ; implicit-def: $vgpr62_vgpr63
                                        ; implicit-def: $vgpr58_vgpr59
	v_mad_u32_u24 v52, 0xd0, v82, v54
                                        ; implicit-def: $vgpr54_vgpr55
	ds_store_b128 v52, v[12:15] offset:32
	ds_store_b128 v52, v[8:11] offset:48
	;; [unrolled: 1-line block ×12, first 2 shown]
	ds_store_b128 v52, v[0:3]
	global_wb scope:SCOPE_SE
	s_wait_dscnt 0x0
	s_barrier_signal -1
	s_barrier_wait -1
	global_inv scope:SCOPE_SE
	s_and_saveexec_b32 s8, vcc_lo
	s_cbranch_execz .LBB0_16
; %bb.15:
	ds_load_b128 v[0:3], v81
	ds_load_b128 v[4:7], v80 offset:208
	ds_load_b128 v[12:15], v80 offset:416
	ds_load_b128 v[8:11], v80 offset:624
	ds_load_b128 v[16:19], v80 offset:832
	ds_load_b128 v[20:23], v80 offset:1040
	ds_load_b128 v[32:35], v80 offset:1248
	ds_load_b128 v[24:27], v80 offset:1456
	ds_load_b128 v[28:31], v80 offset:1664
	ds_load_b128 v[36:39], v80 offset:1872
	ds_load_b128 v[48:51], v80 offset:2080
	ds_load_b128 v[44:47], v80 offset:2288
	ds_load_b128 v[40:43], v80 offset:2496
	ds_load_b128 v[52:55], v80 offset:2704
	ds_load_b128 v[60:63], v80 offset:2912
	ds_load_b128 v[56:59], v80 offset:3120
.LBB0_16:
	s_wait_alu 0xfffe
	s_or_b32 exec_lo, exec_lo, s8
	global_wb scope:SCOPE_SE
	s_wait_dscnt 0x0
	s_barrier_signal -1
	s_barrier_wait -1
	global_inv scope:SCOPE_SE
	s_and_saveexec_b32 s14, vcc_lo
	s_cbranch_execz .LBB0_18
; %bb.17:
	v_dual_mov_b32 v65, 0 :: v_dual_add_nc_u32 v64, -13, v82
	s_mov_b32 s8, 0x667f3bcd
	s_mov_b32 s9, 0x3fe6a09e
	;; [unrolled: 1-line block ×3, first 2 shown]
	s_delay_alu instid0(VALU_DEP_1)
	v_cndmask_b32_e32 v64, v64, v82, vcc_lo
	s_wait_alu 0xfffe
	s_mov_b32 s10, s8
	s_mov_b32 s16, 0xa6aea964
	;; [unrolled: 1-line block ×4, first 2 shown]
	v_mul_i32_i24_e32 v64, 15, v64
	s_wait_alu 0xfffe
	s_mov_b32 s18, s16
	s_mov_b32 s21, 0xbfed906b
	s_delay_alu instid0(VALU_DEP_1) | instskip(NEXT) | instid1(VALU_DEP_1)
	v_lshlrev_b64_e32 v[64:65], 4, v[64:65]
	v_add_co_u32 v64, vcc_lo, s12, v64
	s_wait_alu 0xfffd
	s_delay_alu instid0(VALU_DEP_2)
	v_add_co_ci_u32_e32 v65, vcc_lo, s13, v65, vcc_lo
	s_mov_b32 s12, 0xcf328d46
	s_mov_b32 s13, 0x3fed906b
	s_wait_alu 0xfffe
	s_mov_b32 s20, s12
	s_clause 0xe
	global_load_b128 v[82:85], v[64:65], off offset:16
	global_load_b128 v[86:89], v[64:65], off offset:144
	;; [unrolled: 1-line block ×7, first 2 shown]
	global_load_b128 v[110:113], v[64:65], off
	global_load_b128 v[114:117], v[64:65], off offset:128
	global_load_b128 v[118:121], v[64:65], off offset:64
	;; [unrolled: 1-line block ×7, first 2 shown]
	s_wait_loadcnt 0xe
	v_mul_f64_e32 v[64:65], v[14:15], v[84:85]
	s_wait_loadcnt 0xd
	v_mul_f64_e32 v[66:67], v[50:51], v[88:89]
	;; [unrolled: 2-line block ×4, first 2 shown]
	v_mul_f64_e32 v[72:73], v[12:13], v[84:85]
	v_mul_f64_e32 v[76:77], v[48:49], v[88:89]
	;; [unrolled: 1-line block ×4, first 2 shown]
	s_wait_loadcnt 0xa
	v_mul_f64_e32 v[92:93], v[18:19], v[100:101]
	s_wait_loadcnt 0x9
	v_mul_f64_e32 v[96:97], v[42:43], v[104:105]
	;; [unrolled: 2-line block ×11, first 2 shown]
	v_mul_f64_e32 v[128:129], v[8:9], v[128:129]
	v_mul_f64_e32 v[132:133], v[44:45], v[132:133]
	;; [unrolled: 1-line block ×11, first 2 shown]
	v_fma_f64 v[12:13], v[12:13], v[82:83], -v[64:65]
	v_fma_f64 v[48:49], v[48:49], v[86:87], -v[66:67]
	v_fma_f64 v[34:35], v[34:35], v[90:91], v[68:69]
	v_fma_f64 v[62:63], v[62:63], v[94:95], v[70:71]
	;; [unrolled: 1-line block ×4, first 2 shown]
	v_fma_f64 v[32:33], v[32:33], v[90:91], -v[84:85]
	v_fma_f64 v[60:61], v[60:61], v[94:95], -v[88:89]
	;; [unrolled: 1-line block ×4, first 2 shown]
	v_fma_f64 v[30:31], v[30:31], v[106:107], v[142:143]
	v_fma_f64 v[4:5], v[4:5], v[110:111], -v[144:145]
	v_fma_f64 v[36:37], v[36:37], v[114:115], -v[146:147]
	v_fma_f64 v[22:23], v[22:23], v[118:119], v[148:149]
	v_fma_f64 v[54:55], v[54:55], v[122:123], v[150:151]
	v_fma_f64 v[8:9], v[8:9], v[126:127], -v[152:153]
	v_fma_f64 v[44:45], v[44:45], v[130:131], -v[154:155]
	v_fma_f64 v[26:27], v[26:27], v[134:135], v[156:157]
	v_fma_f64 v[58:59], v[58:59], v[138:139], v[158:159]
	;; [unrolled: 1-line block ×4, first 2 shown]
	v_fma_f64 v[24:25], v[24:25], v[134:135], -v[136:137]
	v_fma_f64 v[56:57], v[56:57], v[138:139], -v[140:141]
	v_fma_f64 v[6:7], v[6:7], v[110:111], v[112:113]
	v_fma_f64 v[38:39], v[38:39], v[114:115], v[116:117]
	v_fma_f64 v[20:21], v[20:21], v[118:119], -v[120:121]
	v_fma_f64 v[52:53], v[52:53], v[122:123], -v[124:125]
	;; [unrolled: 1-line block ×3, first 2 shown]
	v_fma_f64 v[18:19], v[18:19], v[98:99], v[100:101]
	v_fma_f64 v[42:43], v[42:43], v[102:103], v[104:105]
	v_add_f64_e64 v[48:49], v[12:13], -v[48:49]
	v_add_f64_e64 v[62:63], v[34:35], -v[62:63]
	;; [unrolled: 1-line block ×16, first 2 shown]
	v_fma_f64 v[12:13], v[12:13], 2.0, -v[48:49]
	v_add_f64_e64 v[64:65], v[48:49], -v[62:63]
	v_fma_f64 v[34:35], v[34:35], 2.0, -v[62:63]
	v_fma_f64 v[14:15], v[14:15], 2.0, -v[50:51]
	v_add_f64_e32 v[68:69], v[50:51], v[60:61]
	v_fma_f64 v[32:33], v[32:33], 2.0, -v[60:61]
	v_fma_f64 v[16:17], v[16:17], 2.0, -v[40:41]
	v_add_f64_e32 v[66:67], v[30:31], v[40:41]
	v_fma_f64 v[2:3], v[2:3], 2.0, -v[30:31]
	v_fma_f64 v[4:5], v[4:5], 2.0, -v[36:37]
	v_add_f64_e64 v[70:71], v[36:37], -v[54:55]
	v_fma_f64 v[22:23], v[22:23], 2.0, -v[54:55]
	v_fma_f64 v[8:9], v[8:9], 2.0, -v[44:45]
	v_add_f64_e64 v[72:73], v[44:45], -v[58:59]
	v_fma_f64 v[26:27], v[26:27], 2.0, -v[58:59]
	v_fma_f64 v[10:11], v[10:11], 2.0, -v[46:47]
	v_add_f64_e32 v[76:77], v[46:47], v[56:57]
	v_fma_f64 v[24:25], v[24:25], 2.0, -v[56:57]
	v_fma_f64 v[6:7], v[6:7], 2.0, -v[38:39]
	v_add_f64_e32 v[82:83], v[38:39], v[52:53]
	v_fma_f64 v[20:21], v[20:21], 2.0, -v[52:53]
	v_fma_f64 v[0:1], v[0:1], 2.0, -v[28:29]
	v_add_f64_e64 v[84:85], v[28:29], -v[42:43]
	v_fma_f64 v[18:19], v[18:19], 2.0, -v[42:43]
	v_fma_f64 v[40:41], v[48:49], 2.0, -v[64:65]
	v_add_f64_e64 v[34:35], v[14:15], -v[34:35]
	v_fma_f64 v[42:43], v[50:51], 2.0, -v[68:69]
	v_add_f64_e64 v[32:33], v[12:13], -v[32:33]
	v_fma_f64 v[30:31], v[30:31], 2.0, -v[66:67]
	v_fma_f64 v[48:49], v[68:69], s[8:9], v[66:67]
	v_fma_f64 v[36:37], v[36:37], 2.0, -v[70:71]
	v_fma_f64 v[44:45], v[44:45], 2.0, -v[72:73]
	v_fma_f64 v[50:51], v[72:73], s[8:9], v[70:71]
	v_add_f64_e64 v[26:27], v[10:11], -v[26:27]
	v_fma_f64 v[46:47], v[46:47], 2.0, -v[76:77]
	v_add_f64_e64 v[24:25], v[8:9], -v[24:25]
	v_add_f64_e64 v[22:23], v[6:7], -v[22:23]
	v_fma_f64 v[38:39], v[38:39], 2.0, -v[82:83]
	v_add_f64_e64 v[20:21], v[4:5], -v[20:21]
	v_fma_f64 v[52:53], v[76:77], s[8:9], v[82:83]
	v_fma_f64 v[28:29], v[28:29], 2.0, -v[84:85]
	v_add_f64_e64 v[18:19], v[2:3], -v[18:19]
	v_fma_f64 v[54:55], v[64:65], s[8:9], v[84:85]
	v_add_f64_e64 v[16:17], v[0:1], -v[16:17]
	v_fma_f64 v[14:15], v[14:15], 2.0, -v[34:35]
	v_fma_f64 v[12:13], v[12:13], 2.0, -v[32:33]
	v_fma_f64 v[56:57], v[42:43], s[10:11], v[30:31]
	v_fma_f64 v[48:49], v[64:65], s[8:9], v[48:49]
	;; [unrolled: 1-line block ×4, first 2 shown]
	v_fma_f64 v[10:11], v[10:11], 2.0, -v[26:27]
	v_fma_f64 v[8:9], v[8:9], 2.0, -v[24:25]
	v_add_f64_e32 v[24:25], v[22:23], v[24:25]
	v_fma_f64 v[6:7], v[6:7], 2.0, -v[22:23]
	v_fma_f64 v[60:61], v[46:47], s[10:11], v[38:39]
	v_fma_f64 v[4:5], v[4:5], 2.0, -v[20:21]
	v_fma_f64 v[52:53], v[72:73], s[8:9], v[52:53]
	v_fma_f64 v[62:63], v[40:41], s[10:11], v[28:29]
	v_add_f64_e32 v[64:65], v[18:19], v[32:33]
	v_fma_f64 v[54:55], v[68:69], s[10:11], v[54:55]
	v_add_f64_e64 v[68:69], v[20:21], -v[26:27]
	v_add_f64_e64 v[72:73], v[16:17], -v[34:35]
	v_fma_f64 v[2:3], v[2:3], 2.0, -v[18:19]
	v_fma_f64 v[0:1], v[0:1], 2.0, -v[16:17]
	v_fma_f64 v[56:57], v[40:41], s[8:9], v[56:57]
	v_fma_f64 v[26:27], v[46:47], s[10:11], v[58:59]
	;; [unrolled: 1-line block ×3, first 2 shown]
	v_fma_f64 v[44:45], v[66:67], 2.0, -v[48:49]
	v_fma_f64 v[34:35], v[82:83], 2.0, -v[52:53]
	v_fma_f64 v[58:59], v[42:43], s[10:11], v[62:63]
	v_fma_f64 v[60:61], v[18:19], 2.0, -v[64:65]
	v_fma_f64 v[66:67], v[84:85], 2.0, -v[54:55]
	;; [unrolled: 1-line block ×5, first 2 shown]
	v_add_f64_e64 v[40:41], v[2:3], -v[14:15]
	v_fma_f64 v[14:15], v[70:71], 2.0, -v[50:51]
	v_add_f64_e64 v[8:9], v[4:5], -v[8:9]
	v_add_f64_e64 v[46:47], v[0:1], -v[12:13]
	;; [unrolled: 1-line block ×3, first 2 shown]
	v_fma_f64 v[16:17], v[24:25], s[8:9], v[64:65]
	v_fma_f64 v[22:23], v[68:69], s[8:9], v[72:73]
	;; [unrolled: 1-line block ×3, first 2 shown]
	v_fma_f64 v[70:71], v[30:31], 2.0, -v[56:57]
	v_fma_f64 v[30:31], v[36:37], 2.0, -v[26:27]
	;; [unrolled: 1-line block ×3, first 2 shown]
	v_fma_f64 v[38:39], v[32:33], s[16:17], v[56:57]
	v_fma_f64 v[82:83], v[34:35], s[18:19], v[44:45]
	v_fma_f64 v[76:77], v[28:29], 2.0, -v[58:59]
	v_fma_f64 v[28:29], v[50:51], s[12:13], v[54:55]
	v_fma_f64 v[42:43], v[26:27], s[16:17], v[58:59]
	;; [unrolled: 1-line block ×4, first 2 shown]
	v_fma_f64 v[90:91], v[2:3], 2.0, -v[40:41]
	v_fma_f64 v[88:89], v[14:15], s[18:19], v[66:67]
	v_fma_f64 v[96:97], v[4:5], 2.0, -v[8:9]
	v_fma_f64 v[94:95], v[0:1], 2.0, -v[46:47]
	;; [unrolled: 1-line block ×3, first 2 shown]
	v_fma_f64 v[6:7], v[68:69], s[8:9], v[16:17]
	v_fma_f64 v[4:5], v[24:25], s[10:11], v[22:23]
	;; [unrolled: 1-line block ×3, first 2 shown]
	v_add_f64_e32 v[10:11], v[40:41], v[8:9]
	v_add_f64_e64 v[8:9], v[46:47], -v[12:13]
	s_wait_alu 0xfffe
	v_fma_f64 v[98:99], v[36:37], s[20:21], v[70:71]
	v_fma_f64 v[22:23], v[26:27], s[12:13], v[38:39]
	;; [unrolled: 1-line block ×9, first 2 shown]
	v_add_f64_e64 v[24:25], v[94:95], -v[96:97]
	v_add_f64_e64 v[26:27], v[90:91], -v[92:93]
	v_fma_f64 v[38:39], v[64:65], 2.0, -v[6:7]
	v_fma_f64 v[34:35], v[48:49], 2.0, -v[2:3]
	;; [unrolled: 1-line block ×4, first 2 shown]
	v_fma_f64 v[30:31], v[30:31], s[16:17], v[98:99]
	v_fma_f64 v[46:47], v[44:45], 2.0, -v[14:15]
	v_fma_f64 v[28:29], v[36:37], s[18:19], v[100:101]
	v_fma_f64 v[36:37], v[72:73], 2.0, -v[4:5]
	v_fma_f64 v[32:33], v[54:55], 2.0, -v[0:1]
	;; [unrolled: 1-line block ×11, first 2 shown]
	ds_store_b128 v80, v[36:39] offset:1248
	ds_store_b128 v80, v[32:35] offset:1456
	ds_store_b128 v80, v[16:19] offset:2080
	ds_store_b128 v80, v[12:15] offset:2288
	ds_store_b128 v80, v[8:11] offset:2496
	ds_store_b128 v80, v[20:23] offset:2704
	ds_store_b128 v80, v[48:51] offset:416
	ds_store_b128 v80, v[44:47] offset:624
	ds_store_b128 v80, v[40:43] offset:832
	ds_store_b128 v80, v[52:55] offset:1040
	ds_store_b128 v80, v[24:27] offset:1664
	ds_store_b128 v80, v[28:31] offset:1872
	ds_store_b128 v81, v[56:59]
	ds_store_b128 v80, v[60:63] offset:208
	ds_store_b128 v80, v[4:7] offset:2912
	;; [unrolled: 1-line block ×3, first 2 shown]
.LBB0_18:
	s_wait_alu 0xfffe
	s_or_b32 exec_lo, exec_lo, s14
	global_wb scope:SCOPE_SE
	s_wait_dscnt 0x0
	s_barrier_signal -1
	s_barrier_wait -1
	global_inv scope:SCOPE_SE
	s_and_saveexec_b32 s8, s33
	s_cbranch_execz .LBB0_20
; %bb.19:
	v_mad_co_u64_u32 v[8:9], null, s4, v75, 0
	v_mad_co_u64_u32 v[0:1], null, s6, v78, 0
	v_mad_co_u64_u32 v[10:11], null, s4, v255, 0
	s_lshl_b64 s[2:3], s[2:3], 4
	s_wait_alu 0xfffe
	s_add_nc_u64 s[0:1], s[0:1], s[2:3]
	s_delay_alu instid0(VALU_DEP_3) | instskip(NEXT) | instid1(VALU_DEP_1)
	v_mov_b32_e32 v2, v9
	v_mad_co_u64_u32 v[3:4], null, s7, v78, v[1:2]
	v_lshlrev_b32_e32 v1, 4, v75
	scratch_load_b32 v4, off, off offset:40 th:TH_LOAD_LU ; 4-byte Folded Reload
	s_wait_loadcnt 0x0
	v_add3_u32 v25, 0, v4, v1
	v_mov_b32_e32 v1, v11
	v_mad_co_u64_u32 v[4:5], null, s5, v75, v[2:3]
	s_delay_alu instid0(VALU_DEP_2) | instskip(SKIP_2) | instid1(VALU_DEP_4)
	v_mad_co_u64_u32 v[11:12], null, s5, v255, v[1:2]
	v_mov_b32_e32 v1, v3
	v_mad_co_u64_u32 v[12:13], null, s4, v79, 0
	v_mov_b32_e32 v9, v4
	s_delay_alu instid0(VALU_DEP_3)
	v_lshlrev_b64_e32 v[14:15], 4, v[0:1]
	ds_load_b128 v[0:3], v25
	ds_load_b128 v[4:7], v25 offset:256
	scratch_load_b32 v18, off, off offset:36 th:TH_LOAD_LU ; 4-byte Folded Reload
	v_lshlrev_b64_e32 v[8:9], 4, v[8:9]
	v_lshlrev_b64_e32 v[10:11], 4, v[10:11]
	v_add_co_u32 v26, vcc_lo, s0, v14
	s_wait_alu 0xfffd
	v_add_co_ci_u32_e32 v27, vcc_lo, s1, v15, vcc_lo
	s_delay_alu instid0(VALU_DEP_2) | instskip(SKIP_1) | instid1(VALU_DEP_2)
	v_add_co_u32 v8, vcc_lo, v26, v8
	s_wait_alu 0xfffd
	v_add_co_ci_u32_e32 v9, vcc_lo, v27, v9, vcc_lo
	v_add_co_u32 v10, vcc_lo, v26, v10
	s_wait_alu 0xfffd
	v_add_co_ci_u32_e32 v11, vcc_lo, v27, v11, vcc_lo
	s_wait_loadcnt 0x0
	v_mad_co_u64_u32 v[14:15], null, s4, v18, 0
	s_delay_alu instid0(VALU_DEP_1) | instskip(NEXT) | instid1(VALU_DEP_2)
	v_mad_co_u64_u32 v[16:17], null, s5, v79, v[13:14]
	v_mov_b32_e32 v13, v15
	s_delay_alu instid0(VALU_DEP_1) | instskip(NEXT) | instid1(VALU_DEP_3)
	v_mad_co_u64_u32 v[17:18], null, s5, v18, v[13:14]
	v_mov_b32_e32 v13, v16
	scratch_load_b32 v16, off, off offset:32 th:TH_LOAD_LU ; 4-byte Folded Reload
	s_wait_dscnt 0x1
	global_store_b128 v[8:9], v[0:3], off
	s_wait_dscnt 0x0
	global_store_b128 v[10:11], v[4:7], off
	ds_load_b128 v[0:3], v25 offset:512
	ds_load_b128 v[4:7], v25 offset:768
	s_clause 0x1
	scratch_load_b32 v20, off, off offset:28 th:TH_LOAD_LU
	scratch_load_b32 v23, off, off offset:24 th:TH_LOAD_LU
	v_mov_b32_e32 v15, v17
	v_lshlrev_b64_e32 v[8:9], 4, v[12:13]
	s_delay_alu instid0(VALU_DEP_2) | instskip(SKIP_4) | instid1(VALU_DEP_2)
	v_lshlrev_b64_e32 v[14:15], 4, v[14:15]
	s_wait_loadcnt 0x2
	v_mad_co_u64_u32 v[18:19], null, s4, v16, 0
	s_wait_loadcnt 0x1
	v_mad_co_u64_u32 v[12:13], null, s4, v20, 0
	v_mov_b32_e32 v10, v19
	s_delay_alu instid0(VALU_DEP_1)
	v_mad_co_u64_u32 v[10:11], null, s5, v16, v[10:11]
	v_add_co_u32 v16, vcc_lo, v26, v8
	s_wait_alu 0xfffd
	v_add_co_ci_u32_e32 v17, vcc_lo, v27, v9, vcc_lo
	v_mov_b32_e32 v8, v13
	v_add_co_u32 v13, vcc_lo, v26, v14
	s_wait_alu 0xfffd
	v_add_co_ci_u32_e32 v14, vcc_lo, v27, v15, vcc_lo
	v_mov_b32_e32 v19, v10
	v_mad_co_u64_u32 v[20:21], null, s5, v20, v[8:9]
	ds_load_b128 v[8:11], v25 offset:1024
	s_wait_dscnt 0x2
	global_store_b128 v[16:17], v[0:3], off
	s_wait_dscnt 0x1
	global_store_b128 v[13:14], v[4:7], off
	scratch_load_b32 v16, off, off offset:20 th:TH_LOAD_LU ; 4-byte Folded Reload
	v_lshlrev_b64_e32 v[4:5], 4, v[18:19]
	s_wait_loadcnt 0x1
	v_mad_co_u64_u32 v[21:22], null, s4, v23, 0
	v_mov_b32_e32 v13, v20
	ds_load_b128 v[0:3], v25 offset:1280
	v_add_co_u32 v4, vcc_lo, v26, v4
	s_wait_alu 0xfffd
	v_add_co_ci_u32_e32 v5, vcc_lo, v27, v5, vcc_lo
	v_mov_b32_e32 v6, v22
	v_lshlrev_b64_e32 v[12:13], 4, v[12:13]
	s_delay_alu instid0(VALU_DEP_2)
	v_mad_co_u64_u32 v[6:7], null, s5, v23, v[6:7]
	s_wait_dscnt 0x1
	global_store_b128 v[4:5], v[8:11], off
	scratch_load_b32 v11, off, off offset:16 th:TH_LOAD_LU ; 4-byte Folded Reload
	v_add_co_u32 v7, vcc_lo, v26, v12
	s_wait_alu 0xfffd
	v_add_co_ci_u32_e32 v8, vcc_lo, v27, v13, vcc_lo
	v_mov_b32_e32 v22, v6
	s_wait_dscnt 0x0
	global_store_b128 v[7:8], v[0:3], off
	ds_load_b128 v[0:3], v25 offset:1536
	v_lshlrev_b64_e32 v[8:9], 4, v[21:22]
	s_wait_loadcnt 0x1
	v_mad_co_u64_u32 v[14:15], null, s4, v16, 0
	s_delay_alu instid0(VALU_DEP_1) | instskip(NEXT) | instid1(VALU_DEP_1)
	v_mov_b32_e32 v4, v15
	v_mad_co_u64_u32 v[4:5], null, s5, v16, v[4:5]
	s_delay_alu instid0(VALU_DEP_4) | instskip(SKIP_4) | instid1(VALU_DEP_4)
	v_add_co_u32 v16, vcc_lo, v26, v8
	s_wait_alu 0xfffd
	v_add_co_ci_u32_e32 v17, vcc_lo, v27, v9, vcc_lo
	s_wait_loadcnt 0x0
	v_mad_co_u64_u32 v[12:13], null, s4, v11, 0
	v_mov_b32_e32 v15, v4
	ds_load_b128 v[4:7], v25 offset:1792
	s_wait_dscnt 0x1
	global_store_b128 v[16:17], v[0:3], off
	v_mov_b32_e32 v10, v13
	v_lshlrev_b64_e32 v[13:14], 4, v[14:15]
	scratch_load_b32 v15, off, off offset:12 th:TH_LOAD_LU ; 4-byte Folded Reload
	v_mad_co_u64_u32 v[18:19], null, s5, v11, v[10:11]
	ds_load_b128 v[8:11], v25 offset:2048
	v_add_co_u32 v21, vcc_lo, v26, v13
	s_wait_alu 0xfffd
	v_add_co_ci_u32_e32 v22, vcc_lo, v27, v14, vcc_lo
	v_mov_b32_e32 v13, v18
	scratch_load_b32 v18, off, off offset:4 th:TH_LOAD_LU ; 4-byte Folded Reload
	s_wait_dscnt 0x1
	global_store_b128 v[21:22], v[4:7], off
	scratch_load_b32 v21, off, off offset:8 th:TH_LOAD_LU ; 4-byte Folded Reload
	v_lshlrev_b64_e32 v[1:2], 4, v[12:13]
	s_delay_alu instid0(VALU_DEP_1) | instskip(SKIP_1) | instid1(VALU_DEP_2)
	v_add_co_u32 v12, vcc_lo, v26, v1
	s_wait_alu 0xfffd
	v_add_co_ci_u32_e32 v13, vcc_lo, v27, v2, vcc_lo
	s_wait_loadcnt 0x2
	v_mad_co_u64_u32 v[19:20], null, s4, v15, 0
	s_delay_alu instid0(VALU_DEP_1) | instskip(NEXT) | instid1(VALU_DEP_1)
	v_mov_b32_e32 v0, v20
	v_mad_co_u64_u32 v[4:5], null, s5, v15, v[0:1]
	ds_load_b128 v[0:3], v25 offset:2304
	s_wait_dscnt 0x1
	global_store_b128 v[12:13], v[8:11], off
	scratch_load_b32 v12, off, off th:TH_LOAD_LU ; 4-byte Folded Reload
	s_wait_loadcnt 0x2
	v_mad_co_u64_u32 v[5:6], null, s4, v18, 0
	s_wait_loadcnt 0x1
	v_mad_co_u64_u32 v[14:15], null, s4, v21, 0
	v_mov_b32_e32 v20, v4
	s_delay_alu instid0(VALU_DEP_3) | instskip(NEXT) | instid1(VALU_DEP_2)
	v_mov_b32_e32 v4, v6
	v_lshlrev_b64_e32 v[7:8], 4, v[19:20]
	s_delay_alu instid0(VALU_DEP_4) | instskip(NEXT) | instid1(VALU_DEP_3)
	v_mov_b32_e32 v6, v15
	v_mad_co_u64_u32 v[9:10], null, s5, v18, v[4:5]
	s_delay_alu instid0(VALU_DEP_2) | instskip(SKIP_3) | instid1(VALU_DEP_3)
	v_mad_co_u64_u32 v[10:11], null, s5, v21, v[6:7]
	v_add_co_u32 v18, vcc_lo, v26, v7
	s_wait_alu 0xfffd
	v_add_co_ci_u32_e32 v19, vcc_lo, v27, v8, vcc_lo
	v_mov_b32_e32 v15, v10
	s_delay_alu instid0(VALU_DEP_1) | instskip(SKIP_2) | instid1(VALU_DEP_1)
	v_lshlrev_b64_e32 v[23:24], 4, v[14:15]
	s_wait_loadcnt 0x0
	v_mad_co_u64_u32 v[16:17], null, s4, v12, 0
	v_mov_b32_e32 v4, v17
	s_delay_alu instid0(VALU_DEP_1) | instskip(NEXT) | instid1(VALU_DEP_1)
	v_mad_co_u64_u32 v[20:21], null, s5, v12, v[4:5]
	v_dual_mov_b32 v6, v9 :: v_dual_mov_b32 v17, v20
	s_delay_alu instid0(VALU_DEP_1)
	v_lshlrev_b64_e32 v[21:22], 4, v[5:6]
	ds_load_b128 v[4:7], v25 offset:2560
	ds_load_b128 v[8:11], v25 offset:2816
	;; [unrolled: 1-line block ×3, first 2 shown]
	v_lshlrev_b64_e32 v[16:17], 4, v[16:17]
	v_add_co_u32 v20, vcc_lo, v26, v21
	s_wait_alu 0xfffd
	v_add_co_ci_u32_e32 v21, vcc_lo, v27, v22, vcc_lo
	v_add_co_u32 v22, vcc_lo, v26, v23
	s_wait_alu 0xfffd
	v_add_co_ci_u32_e32 v23, vcc_lo, v27, v24, vcc_lo
	;; [unrolled: 3-line block ×3, first 2 shown]
	s_wait_dscnt 0x3
	global_store_b128 v[18:19], v[0:3], off
	s_wait_dscnt 0x2
	global_store_b128 v[20:21], v[4:7], off
	;; [unrolled: 2-line block ×4, first 2 shown]
.LBB0_20:
	s_nop 0
	s_sendmsg sendmsg(MSG_DEALLOC_VGPRS)
	s_endpgm
	.section	.rodata,"a",@progbits
	.p2align	6, 0x0
	.amdhsa_kernel fft_rtc_fwd_len208_factors_13_16_wgs_144_tpt_16_dp_ip_CI_sbcc
		.amdhsa_group_segment_fixed_size 0
		.amdhsa_private_segment_fixed_size 48
		.amdhsa_kernarg_size 96
		.amdhsa_user_sgpr_count 2
		.amdhsa_user_sgpr_dispatch_ptr 0
		.amdhsa_user_sgpr_queue_ptr 0
		.amdhsa_user_sgpr_kernarg_segment_ptr 1
		.amdhsa_user_sgpr_dispatch_id 0
		.amdhsa_user_sgpr_private_segment_size 0
		.amdhsa_wavefront_size32 1
		.amdhsa_uses_dynamic_stack 0
		.amdhsa_enable_private_segment 1
		.amdhsa_system_sgpr_workgroup_id_x 1
		.amdhsa_system_sgpr_workgroup_id_y 0
		.amdhsa_system_sgpr_workgroup_id_z 0
		.amdhsa_system_sgpr_workgroup_info 0
		.amdhsa_system_vgpr_workitem_id 0
		.amdhsa_next_free_vgpr 256
		.amdhsa_next_free_sgpr 49
		.amdhsa_reserve_vcc 1
		.amdhsa_float_round_mode_32 0
		.amdhsa_float_round_mode_16_64 0
		.amdhsa_float_denorm_mode_32 3
		.amdhsa_float_denorm_mode_16_64 3
		.amdhsa_fp16_overflow 0
		.amdhsa_workgroup_processor_mode 1
		.amdhsa_memory_ordered 1
		.amdhsa_forward_progress 0
		.amdhsa_round_robin_scheduling 0
		.amdhsa_exception_fp_ieee_invalid_op 0
		.amdhsa_exception_fp_denorm_src 0
		.amdhsa_exception_fp_ieee_div_zero 0
		.amdhsa_exception_fp_ieee_overflow 0
		.amdhsa_exception_fp_ieee_underflow 0
		.amdhsa_exception_fp_ieee_inexact 0
		.amdhsa_exception_int_div_zero 0
	.end_amdhsa_kernel
	.text
.Lfunc_end0:
	.size	fft_rtc_fwd_len208_factors_13_16_wgs_144_tpt_16_dp_ip_CI_sbcc, .Lfunc_end0-fft_rtc_fwd_len208_factors_13_16_wgs_144_tpt_16_dp_ip_CI_sbcc
                                        ; -- End function
	.section	.AMDGPU.csdata,"",@progbits
; Kernel info:
; codeLenInByte = 9800
; NumSgprs: 51
; NumVgprs: 256
; ScratchSize: 48
; MemoryBound: 0
; FloatMode: 240
; IeeeMode: 1
; LDSByteSize: 0 bytes/workgroup (compile time only)
; SGPRBlocks: 6
; VGPRBlocks: 31
; NumSGPRsForWavesPerEU: 51
; NumVGPRsForWavesPerEU: 256
; Occupancy: 5
; WaveLimiterHint : 1
; COMPUTE_PGM_RSRC2:SCRATCH_EN: 1
; COMPUTE_PGM_RSRC2:USER_SGPR: 2
; COMPUTE_PGM_RSRC2:TRAP_HANDLER: 0
; COMPUTE_PGM_RSRC2:TGID_X_EN: 1
; COMPUTE_PGM_RSRC2:TGID_Y_EN: 0
; COMPUTE_PGM_RSRC2:TGID_Z_EN: 0
; COMPUTE_PGM_RSRC2:TIDIG_COMP_CNT: 0
	.text
	.p2alignl 7, 3214868480
	.fill 96, 4, 3214868480
	.type	__hip_cuid_29dee927d510e553,@object ; @__hip_cuid_29dee927d510e553
	.section	.bss,"aw",@nobits
	.globl	__hip_cuid_29dee927d510e553
__hip_cuid_29dee927d510e553:
	.byte	0                               ; 0x0
	.size	__hip_cuid_29dee927d510e553, 1

	.ident	"AMD clang version 19.0.0git (https://github.com/RadeonOpenCompute/llvm-project roc-6.4.0 25133 c7fe45cf4b819c5991fe208aaa96edf142730f1d)"
	.section	".note.GNU-stack","",@progbits
	.addrsig
	.addrsig_sym __hip_cuid_29dee927d510e553
	.amdgpu_metadata
---
amdhsa.kernels:
  - .args:
      - .actual_access:  read_only
        .address_space:  global
        .offset:         0
        .size:           8
        .value_kind:     global_buffer
      - .address_space:  global
        .offset:         8
        .size:           8
        .value_kind:     global_buffer
      - .offset:         16
        .size:           8
        .value_kind:     by_value
      - .actual_access:  read_only
        .address_space:  global
        .offset:         24
        .size:           8
        .value_kind:     global_buffer
      - .actual_access:  read_only
        .address_space:  global
        .offset:         32
        .size:           8
        .value_kind:     global_buffer
      - .offset:         40
        .size:           8
        .value_kind:     by_value
      - .actual_access:  read_only
        .address_space:  global
        .offset:         48
        .size:           8
        .value_kind:     global_buffer
      - .actual_access:  read_only
        .address_space:  global
        .offset:         56
        .size:           8
        .value_kind:     global_buffer
      - .offset:         64
        .size:           4
        .value_kind:     by_value
      - .actual_access:  read_only
        .address_space:  global
        .offset:         72
        .size:           8
        .value_kind:     global_buffer
      - .actual_access:  read_only
        .address_space:  global
        .offset:         80
        .size:           8
        .value_kind:     global_buffer
      - .address_space:  global
        .offset:         88
        .size:           8
        .value_kind:     global_buffer
    .group_segment_fixed_size: 0
    .kernarg_segment_align: 8
    .kernarg_segment_size: 96
    .language:       OpenCL C
    .language_version:
      - 2
      - 0
    .max_flat_workgroup_size: 144
    .name:           fft_rtc_fwd_len208_factors_13_16_wgs_144_tpt_16_dp_ip_CI_sbcc
    .private_segment_fixed_size: 48
    .sgpr_count:     51
    .sgpr_spill_count: 0
    .symbol:         fft_rtc_fwd_len208_factors_13_16_wgs_144_tpt_16_dp_ip_CI_sbcc.kd
    .uniform_work_group_size: 1
    .uses_dynamic_stack: false
    .vgpr_count:     256
    .vgpr_spill_count: 11
    .wavefront_size: 32
    .workgroup_processor_mode: 1
amdhsa.target:   amdgcn-amd-amdhsa--gfx1201
amdhsa.version:
  - 1
  - 2
...

	.end_amdgpu_metadata
